;; amdgpu-corpus repo=ROCm/rocFFT kind=compiled arch=gfx1030 opt=O3
	.text
	.amdgcn_target "amdgcn-amd-amdhsa--gfx1030"
	.amdhsa_code_object_version 6
	.protected	bluestein_single_back_len176_dim1_dp_op_CI_CI ; -- Begin function bluestein_single_back_len176_dim1_dp_op_CI_CI
	.globl	bluestein_single_back_len176_dim1_dp_op_CI_CI
	.p2align	8
	.type	bluestein_single_back_len176_dim1_dp_op_CI_CI,@function
bluestein_single_back_len176_dim1_dp_op_CI_CI: ; @bluestein_single_back_len176_dim1_dp_op_CI_CI
; %bb.0:
	s_load_dwordx4 s[8:11], s[4:5], 0x28
	v_lshrrev_b32_e32 v44, 4, v0
	v_mov_b32_e32 v169, 0
	s_mov_b32 s0, exec_lo
	v_lshl_or_b32 v168, s6, 2, v44
	s_waitcnt lgkmcnt(0)
	v_cmpx_gt_u64_e64 s[8:9], v[168:169]
	s_cbranch_execz .LBB0_10
; %bb.1:
	s_clause 0x1
	s_load_dwordx4 s[0:3], s[4:5], 0x18
	s_load_dwordx4 s[12:15], s[4:5], 0x0
	v_and_b32_e32 v193, 15, v0
	s_mov_b32 s30, 0xf8bb580b
	s_mov_b32 s20, 0xbb3a28a1
	;; [unrolled: 1-line block ×4, first 2 shown]
	v_or_b32_e32 v5, 0x80, v193
	v_or_b32_e32 v6, 0x90, v193
	v_lshlrev_b32_e32 v184, 4, v193
	s_mov_b32 s7, 0xbfed1bb4
	s_mov_b32 s6, 0x8eee2c13
	v_lshlrev_b32_e32 v183, 4, v5
	v_lshlrev_b32_e32 v182, 4, v6
	s_mov_b32 s21, 0xbfe82f19
	s_mov_b32 s27, 0xbfd207e7
	;; [unrolled: 1-line block ×6, first 2 shown]
	s_waitcnt lgkmcnt(0)
	s_load_dwordx4 s[16:19], s[0:1], 0x0
	s_clause 0x3
	global_load_dwordx4 v[24:27], v184, s[12:13]
	global_load_dwordx4 v[32:35], v184, s[12:13] offset:256
	global_load_dwordx4 v[28:31], v184, s[12:13] offset:512
	;; [unrolled: 1-line block ×3, first 2 shown]
	s_mov_b32 s37, 0x3fd207e7
	s_mov_b32 s35, 0x3fefac9e
	;; [unrolled: 1-line block ×5, first 2 shown]
	s_waitcnt lgkmcnt(0)
	v_mad_u64_u32 v[8:9], null, s16, v193, 0
	v_mad_u64_u32 v[0:1], null, s18, v168, 0
	s_lshl_b64 s[0:1], s[16:17], 8
	v_mov_b32_e32 v2, v9
	v_mad_u64_u32 v[3:4], null, s19, v168, v[1:2]
	v_or_b32_e32 v1, 0xa0, v193
	s_mov_b32 s18, 0x43842ef
	s_mov_b32 s19, 0xbfefac9e
	;; [unrolled: 1-line block ×3, first 2 shown]
	v_lshlrev_b32_e32 v181, 4, v1
	v_mad_u64_u32 v[4:5], null, s17, v193, v[2:3]
	v_mov_b32_e32 v1, v3
	s_mov_b32 s16, 0x640f44db
	s_mov_b32 s17, 0xbfc2375f
	v_lshlrev_b64 v[10:11], 4, v[0:1]
	v_mov_b32_e32 v9, v4
	s_clause 0x2
	global_load_dwordx4 v[20:23], v184, s[12:13] offset:1024
	global_load_dwordx4 v[4:7], v184, s[12:13] offset:1280
	;; [unrolled: 1-line block ×3, first 2 shown]
	v_add_co_u32 v18, vcc_lo, s10, v10
	v_lshlrev_b64 v[16:17], 4, v[8:9]
	v_add_co_ci_u32_e32 v19, vcc_lo, s11, v11, vcc_lo
	global_load_dwordx4 v[8:11], v184, s[12:13] offset:1792
	v_add_co_u32 v36, vcc_lo, v18, v16
	v_add_co_ci_u32_e32 v37, vcc_lo, v19, v17, vcc_lo
	global_load_dwordx4 v[16:19], v183, s[12:13]
	v_add_co_u32 v38, vcc_lo, v36, s0
	v_add_co_ci_u32_e32 v39, vcc_lo, s1, v37, vcc_lo
	global_load_dwordx4 v[45:48], v[36:37], off
	v_add_co_u32 v40, vcc_lo, v38, s0
	global_load_dwordx4 v[49:52], v[38:39], off
	v_add_co_ci_u32_e32 v41, vcc_lo, s1, v39, vcc_lo
	v_add_co_u32 v36, vcc_lo, v40, s0
	v_add_co_ci_u32_e32 v37, vcc_lo, s1, v41, vcc_lo
	v_add_co_u32 v38, vcc_lo, v36, s0
	global_load_dwordx4 v[53:56], v[40:41], off
	v_add_co_ci_u32_e32 v39, vcc_lo, s1, v37, vcc_lo
	v_add_co_u32 v40, vcc_lo, v38, s0
	s_clause 0x1
	global_load_dwordx4 v[57:60], v[36:37], off
	global_load_dwordx4 v[63:66], v[38:39], off
	v_add_co_ci_u32_e32 v41, vcc_lo, s1, v39, vcc_lo
	v_add_co_u32 v36, vcc_lo, v40, s0
	v_add_co_ci_u32_e32 v37, vcc_lo, s1, v41, vcc_lo
	v_add_co_u32 v38, vcc_lo, v36, s0
	global_load_dwordx4 v[67:70], v[40:41], off
	v_add_co_ci_u32_e32 v39, vcc_lo, s1, v37, vcc_lo
	v_add_co_u32 v40, vcc_lo, v38, s0
	global_load_dwordx4 v[71:74], v[36:37], off
	;; [unrolled: 3-line block ×3, first 2 shown]
	v_add_co_ci_u32_e32 v43, vcc_lo, s1, v41, vcc_lo
	v_add_co_u32 v61, vcc_lo, v42, s0
	v_add_co_ci_u32_e32 v62, vcc_lo, s1, v43, vcc_lo
	global_load_dwordx4 v[79:82], v[40:41], off
	global_load_dwordx4 v[36:39], v182, s[12:13]
	global_load_dwordx4 v[83:86], v[42:43], off
	global_load_dwordx4 v[40:43], v181, s[12:13]
	global_load_dwordx4 v[87:90], v[61:62], off
	v_mul_u32_u24_e32 v62, 0xb0, v44
	s_load_dwordx4 s[8:11], s[2:3], 0x0
	s_mov_b32 s0, 0x8764f0ba
	s_mov_b32 s2, 0xd9c712b6
	s_mov_b32 s1, 0x3feaeb8c
	v_lshl_or_b32 v194, v62, 4, v184
	s_mov_b32 s3, 0x3fda9628
	v_cmp_gt_u32_e32 vcc_lo, 11, v193
	s_waitcnt vmcnt(12)
	v_mul_f64 v[91:92], v[47:48], v[26:27]
	v_mul_f64 v[93:94], v[45:46], v[26:27]
	s_waitcnt vmcnt(11)
	v_mul_f64 v[95:96], v[51:52], v[34:35]
	v_mul_f64 v[97:98], v[49:50], v[34:35]
	;; [unrolled: 3-line block ×5, first 2 shown]
	v_fma_f64 v[44:45], v[45:46], v[24:25], v[91:92]
	v_fma_f64 v[46:47], v[47:48], v[24:25], -v[93:94]
	v_fma_f64 v[48:49], v[49:50], v[32:33], v[95:96]
	v_fma_f64 v[50:51], v[51:52], v[32:33], -v[97:98]
	s_waitcnt vmcnt(7)
	v_mul_f64 v[111:112], v[69:70], v[6:7]
	v_mul_f64 v[113:114], v[67:68], v[6:7]
	s_waitcnt vmcnt(6)
	v_mul_f64 v[115:116], v[73:74], v[2:3]
	v_mul_f64 v[117:118], v[71:72], v[2:3]
	v_fma_f64 v[52:53], v[53:54], v[28:29], v[99:100]
	v_fma_f64 v[54:55], v[55:56], v[28:29], -v[101:102]
	s_waitcnt vmcnt(5)
	v_mul_f64 v[119:120], v[77:78], v[10:11]
	v_mul_f64 v[121:122], v[75:76], v[10:11]
	v_fma_f64 v[56:57], v[57:58], v[12:13], v[103:104]
	v_fma_f64 v[58:59], v[59:60], v[12:13], -v[105:106]
	s_waitcnt vmcnt(4)
	v_mul_f64 v[123:124], v[81:82], v[18:19]
	v_mul_f64 v[125:126], v[79:80], v[18:19]
	s_waitcnt vmcnt(2)
	v_mul_f64 v[127:128], v[85:86], v[38:39]
	v_mul_f64 v[129:130], v[83:84], v[38:39]
	;; [unrolled: 3-line block ×3, first 2 shown]
	v_fma_f64 v[63:64], v[63:64], v[20:21], v[107:108]
	v_fma_f64 v[65:66], v[65:66], v[20:21], -v[109:110]
	v_fma_f64 v[67:68], v[67:68], v[4:5], v[111:112]
	v_fma_f64 v[69:70], v[69:70], v[4:5], -v[113:114]
	v_or_b32_e32 v60, v62, v193
	v_fma_f64 v[71:72], v[71:72], v[0:1], v[115:116]
	v_fma_f64 v[73:74], v[73:74], v[0:1], -v[117:118]
	v_lshlrev_b32_e32 v195, 4, v60
	v_fma_f64 v[75:76], v[75:76], v[8:9], v[119:120]
	v_fma_f64 v[77:78], v[77:78], v[8:9], -v[121:122]
	v_fma_f64 v[79:80], v[79:80], v[16:17], v[123:124]
	v_fma_f64 v[81:82], v[81:82], v[16:17], -v[125:126]
	;; [unrolled: 2-line block ×4, first 2 shown]
	ds_write_b128 v195, v[44:47]
	ds_write_b128 v194, v[48:51] offset:256
	ds_write_b128 v194, v[52:55] offset:512
	;; [unrolled: 1-line block ×10, first 2 shown]
	s_waitcnt lgkmcnt(0)
	s_barrier
	buffer_gl0_inv
	ds_read_b128 v[52:55], v195
	ds_read_b128 v[56:59], v194 offset:256
	ds_read_b128 v[63:66], v194 offset:512
	;; [unrolled: 1-line block ×6, first 2 shown]
	s_waitcnt lgkmcnt(5)
	v_add_f64 v[44:45], v[52:53], v[56:57]
	v_add_f64 v[46:47], v[54:55], v[58:59]
	s_waitcnt lgkmcnt(2)
	v_add_f64 v[101:102], v[63:64], v[48:49]
	v_add_f64 v[103:104], v[65:66], v[50:51]
	;; [unrolled: 3-line block ×3, first 2 shown]
	v_add_f64 v[60:61], v[44:45], v[63:64]
	v_add_f64 v[75:76], v[46:47], v[65:66]
	ds_read_b128 v[44:47], v194 offset:2560
	v_add_f64 v[63:64], v[63:64], -v[48:49]
	v_add_f64 v[65:66], v[65:66], -v[50:51]
	v_add_f64 v[60:61], v[60:61], v[67:68]
	v_add_f64 v[91:92], v[75:76], v[69:70]
	ds_read_b128 v[75:78], v194 offset:1024
	ds_read_b128 v[83:86], v194 offset:1280
	ds_read_b128 v[87:90], v194 offset:1536
	s_waitcnt lgkmcnt(3)
	v_add_f64 v[93:94], v[58:59], -v[46:47]
	v_add_f64 v[95:96], v[56:57], -v[44:45]
	v_add_f64 v[97:98], v[56:57], v[44:45]
	v_add_f64 v[99:100], v[58:59], v[46:47]
	v_add_f64 v[69:70], v[69:70], -v[73:74]
	v_mul_f64 v[133:134], v[65:66], s[6:7]
	v_mul_f64 v[137:138], v[63:64], s[6:7]
	v_add_f64 v[67:68], v[67:68], -v[71:72]
	v_mul_f64 v[135:136], v[65:66], s[20:21]
	v_mul_f64 v[139:140], v[63:64], s[20:21]
	;; [unrolled: 1-line block ×5, first 2 shown]
	s_waitcnt lgkmcnt(0)
	s_barrier
	buffer_gl0_inv
	v_add_f64 v[109:110], v[60:61], v[75:76]
	v_add_f64 v[91:92], v[91:92], v[77:78]
	;; [unrolled: 1-line block ×4, first 2 shown]
	v_add_f64 v[58:59], v[83:84], -v[87:88]
	v_add_f64 v[115:116], v[85:86], -v[89:90]
	v_mul_f64 v[117:118], v[93:94], s[30:31]
	v_mul_f64 v[119:120], v[95:96], s[30:31]
	;; [unrolled: 1-line block ×10, first 2 shown]
	s_mov_b32 s7, 0x3fed1bb4
	v_add_f64 v[111:112], v[75:76], v[79:80]
	v_add_f64 v[113:114], v[77:78], v[81:82]
	v_add_f64 v[75:76], v[75:76], -v[79:80]
	v_add_f64 v[77:78], v[77:78], -v[81:82]
	v_mul_f64 v[145:146], v[69:70], s[18:19]
	v_add_f64 v[83:84], v[109:110], v[83:84]
	v_add_f64 v[85:86], v[91:92], v[85:86]
	v_mul_f64 v[91:92], v[65:66], s[36:37]
	v_mul_f64 v[109:110], v[65:66], s[34:35]
	;; [unrolled: 1-line block ×7, first 2 shown]
	v_fma_f64 v[153:154], v[97:98], s[0:1], -v[117:118]
	v_fma_f64 v[155:156], v[99:100], s[0:1], v[119:120]
	v_fma_f64 v[117:118], v[97:98], s[0:1], v[117:118]
	v_fma_f64 v[119:120], v[99:100], s[0:1], -v[119:120]
	v_fma_f64 v[157:158], v[97:98], s[2:3], -v[121:122]
	v_fma_f64 v[159:160], v[99:100], s[2:3], v[123:124]
	v_fma_f64 v[161:162], v[97:98], s[22:23], -v[129:130]
	v_fma_f64 v[163:164], v[99:100], s[22:23], v[131:132]
	v_fma_f64 v[129:130], v[97:98], s[22:23], v[129:130]
	v_fma_f64 v[131:132], v[99:100], s[22:23], -v[131:132]
	v_fma_f64 v[165:166], v[97:98], s[24:25], -v[93:94]
	v_fma_f64 v[93:94], v[97:98], s[24:25], v[93:94]
	v_fma_f64 v[169:170], v[101:102], s[22:23], -v[135:136]
	v_add_f64 v[83:84], v[83:84], v[87:88]
	v_add_f64 v[85:86], v[85:86], v[89:90]
	v_fma_f64 v[87:88], v[97:98], s[2:3], v[121:122]
	v_fma_f64 v[89:90], v[99:100], s[2:3], -v[123:124]
	v_fma_f64 v[121:122], v[97:98], s[16:17], -v[125:126]
	v_fma_f64 v[123:124], v[99:100], s[16:17], v[127:128]
	v_fma_f64 v[125:126], v[97:98], s[16:17], v[125:126]
	v_fma_f64 v[127:128], v[99:100], s[16:17], -v[127:128]
	v_fma_f64 v[97:98], v[99:100], s[24:25], v[95:96]
	v_fma_f64 v[95:96], v[99:100], s[24:25], -v[95:96]
	v_fma_f64 v[99:100], v[101:102], s[2:3], -v[133:134]
	v_fma_f64 v[133:134], v[101:102], s[2:3], v[133:134]
	v_fma_f64 v[135:136], v[101:102], s[22:23], v[135:136]
	v_fma_f64 v[171:172], v[101:102], s[24:25], -v[91:92]
	v_fma_f64 v[91:92], v[101:102], s[24:25], v[91:92]
	v_add_f64 v[153:154], v[52:53], v[153:154]
	v_add_f64 v[155:156], v[54:55], v[155:156]
	;; [unrolled: 1-line block ×9, first 2 shown]
	v_fma_f64 v[83:84], v[101:102], s[16:17], -v[109:110]
	v_fma_f64 v[85:86], v[101:102], s[16:17], v[109:110]
	v_fma_f64 v[109:110], v[101:102], s[0:1], -v[65:66]
	v_fma_f64 v[65:66], v[101:102], s[0:1], v[65:66]
	v_fma_f64 v[101:102], v[103:104], s[2:3], v[137:138]
	v_fma_f64 v[137:138], v[103:104], s[2:3], -v[137:138]
	v_add_f64 v[87:88], v[52:53], v[87:88]
	v_add_f64 v[89:90], v[54:55], v[89:90]
	;; [unrolled: 1-line block ×13, first 2 shown]
	v_fma_f64 v[173:174], v[103:104], s[22:23], v[139:140]
	v_fma_f64 v[139:140], v[103:104], s[22:23], -v[139:140]
	v_fma_f64 v[175:176], v[103:104], s[24:25], v[141:142]
	v_fma_f64 v[141:142], v[103:104], s[24:25], -v[141:142]
	v_add_f64 v[52:53], v[79:80], v[71:72]
	v_add_f64 v[54:55], v[81:82], v[73:74]
	v_fma_f64 v[71:72], v[103:104], s[16:17], v[143:144]
	v_fma_f64 v[73:74], v[103:104], s[16:17], -v[143:144]
	v_fma_f64 v[79:80], v[103:104], s[0:1], v[63:64]
	v_fma_f64 v[63:64], v[103:104], s[0:1], -v[63:64]
	v_fma_f64 v[81:82], v[105:106], s[16:17], -v[145:146]
	v_fma_f64 v[103:104], v[105:106], s[16:17], v[145:146]
	v_fma_f64 v[143:144], v[105:106], s[24:25], -v[147:148]
	v_fma_f64 v[145:146], v[105:106], s[24:25], v[147:148]
	;; [unrolled: 2-line block ×5, first 2 shown]
	v_mul_f64 v[105:106], v[67:68], s[18:19]
	v_mul_f64 v[185:186], v[67:68], s[36:37]
	;; [unrolled: 1-line block ×11, first 2 shown]
	v_add_f64 v[99:100], v[99:100], v[153:154]
	v_add_f64 v[101:102], v[101:102], v[155:156]
	;; [unrolled: 1-line block ×11, first 2 shown]
	v_fma_f64 v[191:192], v[107:108], s[16:17], v[105:106]
	v_fma_f64 v[105:106], v[107:108], s[16:17], -v[105:106]
	v_fma_f64 v[196:197], v[107:108], s[24:25], v[185:186]
	v_fma_f64 v[185:186], v[107:108], s[24:25], -v[185:186]
	;; [unrolled: 2-line block ×5, first 2 shown]
	v_mul_f64 v[107:108], v[77:78], s[20:21]
	v_mul_f64 v[77:78], v[77:78], s[6:7]
	v_fma_f64 v[212:213], v[111:112], s[16:17], -v[204:205]
	v_fma_f64 v[204:205], v[111:112], s[16:17], v[204:205]
	v_fma_f64 v[214:215], v[111:112], s[0:1], -v[206:207]
	v_fma_f64 v[206:207], v[111:112], s[0:1], v[206:207]
	;; [unrolled: 2-line block ×3, first 2 shown]
	v_fma_f64 v[228:229], v[113:114], s[16:17], v[220:221]
	v_fma_f64 v[220:221], v[113:114], s[16:17], -v[220:221]
	v_fma_f64 v[230:231], v[113:114], s[0:1], v[222:223]
	v_fma_f64 v[222:223], v[113:114], s[0:1], -v[222:223]
	;; [unrolled: 2-line block ×3, first 2 shown]
	v_add_f64 v[73:74], v[73:74], v[131:132]
	v_add_f64 v[109:110], v[109:110], v[165:166]
	v_mul_f64 v[127:128], v[115:116], s[26:27]
	v_mul_f64 v[129:130], v[115:116], s[28:29]
	;; [unrolled: 1-line block ×5, first 2 shown]
	v_add_f64 v[79:80], v[79:80], v[97:98]
	v_fma_f64 v[210:211], v[111:112], s[22:23], -v[107:108]
	v_fma_f64 v[107:108], v[111:112], s[22:23], v[107:108]
	v_fma_f64 v[218:219], v[111:112], s[2:3], -v[77:78]
	v_fma_f64 v[77:78], v[111:112], s[2:3], v[77:78]
	v_mul_f64 v[111:112], v[75:76], s[20:21]
	v_mul_f64 v[75:76], v[75:76], s[6:7]
	v_add_f64 v[65:66], v[65:66], v[93:94]
	v_add_f64 v[63:64], v[63:64], v[95:96]
	;; [unrolled: 1-line block ×11, first 2 shown]
	v_fma_f64 v[139:140], v[60:61], s[0:1], -v[129:130]
	v_fma_f64 v[129:130], v[60:61], s[0:1], v[129:130]
	v_fma_f64 v[141:142], v[60:61], s[22:23], -v[131:132]
	v_fma_f64 v[131:132], v[60:61], s[22:23], v[131:132]
	;; [unrolled: 2-line block ×3, first 2 shown]
	v_add_f64 v[73:74], v[187:188], v[73:74]
	v_mul_f64 v[91:92], v[58:59], s[26:27]
	v_add_f64 v[109:110], v[177:178], v[109:110]
	v_fma_f64 v[226:227], v[113:114], s[22:23], v[111:112]
	v_fma_f64 v[111:112], v[113:114], s[22:23], -v[111:112]
	v_fma_f64 v[234:235], v[113:114], s[2:3], v[75:76]
	v_fma_f64 v[75:76], v[113:114], s[2:3], -v[75:76]
	v_add_f64 v[113:114], v[133:134], v[117:118]
	v_add_f64 v[117:118], v[137:138], v[119:120]
	;; [unrolled: 1-line block ×4, first 2 shown]
	v_fma_f64 v[137:138], v[60:61], s[24:25], -v[127:128]
	v_fma_f64 v[127:128], v[60:61], s[24:25], v[127:128]
	v_fma_f64 v[157:158], v[60:61], s[2:3], -v[115:116]
	v_fma_f64 v[60:61], v[60:61], s[2:3], v[115:116]
	v_add_f64 v[79:80], v[200:201], v[79:80]
	v_mul_f64 v[115:116], v[58:59], s[20:21]
	v_add_f64 v[65:66], v[151:152], v[65:66]
	v_add_f64 v[63:64], v[189:190], v[63:64]
	;; [unrolled: 1-line block ×11, first 2 shown]
                                        ; implicit-def: $vgpr164_vgpr165
	v_add_f64 v[95:96], v[103:104], v[113:114]
	v_add_f64 v[97:98], v[105:106], v[117:118]
	;; [unrolled: 1-line block ×6, first 2 shown]
	v_mul_f64 v[113:114], v[58:59], s[28:29]
	v_mul_f64 v[117:118], v[58:59], s[18:19]
	;; [unrolled: 1-line block ×3, first 2 shown]
	v_fma_f64 v[119:120], v[56:57], s[24:25], v[91:92]
	v_fma_f64 v[91:92], v[56:57], s[24:25], -v[91:92]
	v_fma_f64 v[123:124], v[56:57], s[22:23], v[115:116]
	v_fma_f64 v[150:151], v[56:57], s[22:23], -v[115:116]
	v_add_f64 v[79:80], v[234:235], v[79:80]
	v_add_f64 v[65:66], v[77:78], v[65:66]
	;; [unrolled: 1-line block ×4, first 2 shown]
	v_fma_f64 v[121:122], v[56:57], s[0:1], v[113:114]
	v_fma_f64 v[148:149], v[56:57], s[0:1], -v[113:114]
	v_fma_f64 v[134:135], v[56:57], s[16:17], v[117:118]
	v_fma_f64 v[159:160], v[56:57], s[16:17], -v[117:118]
	v_fma_f64 v[125:126], v[56:57], s[2:3], v[58:59]
	v_fma_f64 v[56:57], v[56:57], s[2:3], -v[58:59]
	v_add_f64 v[58:59], v[210:211], v[81:82]
	v_add_f64 v[81:82], v[226:227], v[93:94]
	;; [unrolled: 1-line block ×9, first 2 shown]
	s_load_dwordx2 s[2:3], s[4:5], 0x38
	v_add_f64 v[108:109], v[137:138], v[58:59]
	v_add_f64 v[110:111], v[119:120], v[81:82]
	;; [unrolled: 1-line block ×22, first 2 shown]
	v_mul_u32_u24_e32 v44, 11, v193
                                        ; implicit-def: $vgpr160_vgpr161
                                        ; implicit-def: $vgpr156_vgpr157
                                        ; implicit-def: $vgpr152_vgpr153
                                        ; implicit-def: $vgpr148_vgpr149
	v_add_lshl_u32 v196, v62, v44, 4
	ds_write_b128 v196, v[108:111] offset:16
	ds_write_b128 v196, v[112:115] offset:32
	;; [unrolled: 1-line block ×10, first 2 shown]
	ds_write_b128 v196, v[104:107]
	s_waitcnt lgkmcnt(0)
	s_barrier
	buffer_gl0_inv
	s_and_saveexec_b32 s0, vcc_lo
	s_cbranch_execz .LBB0_3
; %bb.2:
	ds_read_b128 v[104:107], v195
	ds_read_b128 v[108:111], v194 offset:176
	ds_read_b128 v[112:115], v194 offset:352
	;; [unrolled: 1-line block ×15, first 2 shown]
.LBB0_3:
	s_or_b32 exec_lo, exec_lo, s0
	v_add_nc_u32_e32 v44, -11, v193
	s_mov_b32 s5, 0x3fe6a09e
	s_mov_b32 s6, 0xa6aea964
	;; [unrolled: 1-line block ×4, first 2 shown]
	v_cndmask_b32_e32 v44, v44, v193, vcc_lo
	s_mov_b32 s17, 0x3fd87de2
	s_mov_b32 s16, s6
	v_mul_i32_i24_e32 v45, 0xf0, v44
	v_mul_hi_i32_i24_e32 v44, 0xf0, v44
	v_add_co_u32 v96, s0, s14, v45
	v_add_co_ci_u32_e64 v97, s0, s15, v44, s0
	s_mov_b32 s0, 0x667f3bcd
	s_mov_b32 s1, 0xbfe6a09e
	;; [unrolled: 1-line block ×3, first 2 shown]
	s_clause 0xe
	global_load_dwordx4 v[44:47], v[96:97], off
	global_load_dwordx4 v[56:59], v[96:97], off offset:16
	global_load_dwordx4 v[52:55], v[96:97], off offset:32
	;; [unrolled: 1-line block ×14, first 2 shown]
	s_mov_b32 s14, 0xcf328d46
	s_mov_b32 s15, 0xbfed906b
	;; [unrolled: 1-line block ×3, first 2 shown]
	s_waitcnt vmcnt(14) lgkmcnt(14)
	v_mul_f64 v[169:170], v[110:111], v[46:47]
	v_mul_f64 v[171:172], v[108:109], v[46:47]
	s_waitcnt vmcnt(13) lgkmcnt(13)
	v_mul_f64 v[173:174], v[114:115], v[58:59]
	v_mul_f64 v[175:176], v[112:113], v[58:59]
	;; [unrolled: 3-line block ×15, first 2 shown]
	v_fma_f64 v[108:109], v[108:109], v[44:45], -v[169:170]
	v_fma_f64 v[110:111], v[110:111], v[44:45], v[171:172]
	v_fma_f64 v[112:113], v[112:113], v[56:57], -v[173:174]
	v_fma_f64 v[114:115], v[114:115], v[56:57], v[175:176]
	;; [unrolled: 2-line block ×12, first 2 shown]
	v_fma_f64 v[158:159], v[158:159], v[92:93], v[227:228]
	v_fma_f64 v[156:157], v[156:157], v[92:93], -v[225:226]
	v_fma_f64 v[148:149], v[148:149], v[80:81], -v[217:218]
	v_fma_f64 v[150:151], v[150:151], v[80:81], v[219:220]
	v_fma_f64 v[166:167], v[166:167], v[96:97], v[235:236]
	v_fma_f64 v[164:165], v[164:165], v[96:97], -v[233:234]
	v_add_f64 v[140:141], v[104:105], -v[140:141]
	v_add_f64 v[142:143], v[106:107], -v[142:143]
	;; [unrolled: 1-line block ×16, first 2 shown]
	v_fma_f64 v[104:105], v[104:105], 2.0, -v[140:141]
	v_fma_f64 v[106:107], v[106:107], 2.0, -v[142:143]
	v_add_f64 v[171:172], v[142:143], v[152:153]
	v_add_f64 v[169:170], v[140:141], -v[154:155]
	v_fma_f64 v[120:121], v[120:121], 2.0, -v[152:153]
	v_fma_f64 v[122:123], v[122:123], 2.0, -v[154:155]
	v_add_f64 v[175:176], v[146:147], v[160:161]
	v_add_f64 v[173:174], v[144:145], -v[162:163]
	v_fma_f64 v[112:113], v[112:113], 2.0, -v[144:145]
	v_fma_f64 v[114:115], v[114:115], 2.0, -v[146:147]
	v_add_f64 v[185:186], v[136:137], -v[158:159]
	v_add_f64 v[187:188], v[138:139], v[156:157]
	v_fma_f64 v[128:129], v[128:129], 2.0, -v[160:161]
	v_fma_f64 v[160:161], v[130:131], 2.0, -v[162:163]
	v_add_f64 v[152:153], v[148:149], -v[166:167]
	v_add_f64 v[154:155], v[150:151], v[164:165]
	v_fma_f64 v[108:109], v[108:109], 2.0, -v[136:137]
	v_fma_f64 v[110:111], v[110:111], 2.0, -v[138:139]
	;; [unrolled: 1-line block ×10, first 2 shown]
	v_add_f64 v[162:163], v[106:107], -v[122:123]
	v_fma_f64 v[142:143], v[175:176], s[4:5], v[171:172]
	v_fma_f64 v[140:141], v[144:145], 2.0, -v[173:174]
	v_fma_f64 v[144:145], v[146:147], 2.0, -v[175:176]
	;; [unrolled: 1-line block ×4, first 2 shown]
	v_fma_f64 v[138:139], v[173:174], s[4:5], v[169:170]
	v_add_f64 v[122:123], v[114:115], -v[160:161]
	v_fma_f64 v[146:147], v[152:153], s[4:5], v[185:186]
	v_fma_f64 v[177:178], v[154:155], s[4:5], v[187:188]
	v_fma_f64 v[189:190], v[148:149], 2.0, -v[152:153]
	v_fma_f64 v[191:192], v[150:151], 2.0, -v[154:155]
	v_add_f64 v[148:149], v[104:105], -v[120:121]
	v_add_f64 v[120:121], v[112:113], -v[128:129]
	;; [unrolled: 1-line block ×6, first 2 shown]
	v_fma_f64 v[128:129], v[173:174], s[4:5], v[142:143]
	v_fma_f64 v[197:198], v[140:141], s[0:1], v[126:127]
	;; [unrolled: 1-line block ×8, first 2 shown]
	v_fma_f64 v[150:151], v[104:105], 2.0, -v[148:149]
	v_fma_f64 v[154:155], v[106:107], 2.0, -v[162:163]
	;; [unrolled: 1-line block ×8, first 2 shown]
	v_add_f64 v[134:135], v[148:149], -v[122:123]
	v_add_f64 v[142:143], v[162:163], v[120:121]
	v_add_f64 v[177:178], v[164:165], -v[160:161]
	v_add_f64 v[179:180], v[166:167], v[158:159]
	v_fma_f64 v[138:139], v[144:145], s[0:1], v[197:198]
	v_fma_f64 v[144:145], v[140:141], s[4:5], v[199:200]
	v_fma_f64 v[146:147], v[171:172], 2.0, -v[128:129]
	v_fma_f64 v[140:141], v[169:170], 2.0, -v[124:125]
	;; [unrolled: 1-line block ×4, first 2 shown]
	v_fma_f64 v[169:170], v[191:192], s[0:1], v[173:174]
	v_fma_f64 v[173:174], v[189:190], s[4:5], v[175:176]
	v_fma_f64 v[120:121], v[201:202], s[18:19], v[124:125]
	v_fma_f64 v[191:192], v[203:204], s[18:19], v[128:129]
	v_add_f64 v[158:159], v[150:151], -v[104:105]
	v_add_f64 v[160:161], v[154:155], -v[106:107]
	;; [unrolled: 1-line block ×4, first 2 shown]
	v_fma_f64 v[108:109], v[177:178], s[4:5], v[134:135]
	v_fma_f64 v[110:111], v[179:180], s[4:5], v[142:143]
	;; [unrolled: 1-line block ×7, first 2 shown]
	v_add_f64 v[106:107], v[160:161], v[171:172]
	v_add_f64 v[104:105], v[158:159], -v[175:176]
	v_fma_f64 v[116:117], v[179:180], s[0:1], v[108:109]
	v_fma_f64 v[118:119], v[177:178], s[4:5], v[110:111]
	;; [unrolled: 1-line block ×7, first 2 shown]
	s_and_saveexec_b32 s18, vcc_lo
	s_cbranch_execz .LBB0_5
; %bb.4:
	v_fma_f64 v[185:186], v[162:163], 2.0, -v[142:143]
	v_fma_f64 v[162:163], v[166:167], 2.0, -v[179:180]
	;; [unrolled: 1-line block ×17, first 2 shown]
	v_fma_f64 v[148:149], v[162:163], s[0:1], v[185:186]
	v_fma_f64 v[152:153], v[136:137], s[14:15], v[166:167]
	;; [unrolled: 1-line block ×4, first 2 shown]
	v_add_f64 v[132:133], v[179:180], -v[126:127]
	v_fma_f64 v[126:127], v[128:129], 2.0, -v[122:123]
	v_add_f64 v[130:131], v[156:157], -v[130:131]
	v_fma_f64 v[150:151], v[164:165], s[4:5], v[148:149]
	v_fma_f64 v[154:155], v[169:170], s[16:17], v[152:153]
	;; [unrolled: 1-line block ×3, first 2 shown]
	v_fma_f64 v[136:137], v[142:143], 2.0, -v[118:119]
	v_fma_f64 v[148:149], v[162:163], s[0:1], v[175:176]
	v_fma_f64 v[142:143], v[144:145], 2.0, -v[114:115]
	v_fma_f64 v[164:165], v[179:180], 2.0, -v[132:133]
	;; [unrolled: 1-line block ×9, first 2 shown]
	ds_write_b128 v195, v[162:165]
	ds_write_b128 v194, v[144:147] offset:528
	ds_write_b128 v194, v[158:161] offset:704
	;; [unrolled: 1-line block ×15, first 2 shown]
.LBB0_5:
	s_or_b32 exec_lo, exec_lo, s18
	s_add_u32 s0, s12, 0xb00
	s_addc_u32 s1, s13, 0
	s_waitcnt lgkmcnt(0)
	s_barrier
	buffer_gl0_inv
	s_clause 0xa
	global_load_dwordx4 v[124:127], v184, s[0:1]
	global_load_dwordx4 v[128:131], v184, s[0:1] offset:256
	global_load_dwordx4 v[132:135], v184, s[0:1] offset:512
	;; [unrolled: 1-line block ×7, first 2 shown]
	global_load_dwordx4 v[156:159], v183, s[0:1]
	global_load_dwordx4 v[160:163], v182, s[0:1]
	;; [unrolled: 1-line block ×3, first 2 shown]
	ds_read_b128 v[169:172], v195
	s_mov_b32 s4, 0xf8bb580b
	s_mov_b32 s14, 0x8eee2c13
	;; [unrolled: 1-line block ×30, first 2 shown]
	s_waitcnt vmcnt(10) lgkmcnt(0)
	v_mul_f64 v[173:174], v[171:172], v[126:127]
	v_mul_f64 v[126:127], v[169:170], v[126:127]
	v_fma_f64 v[169:170], v[169:170], v[124:125], -v[173:174]
	v_fma_f64 v[171:172], v[171:172], v[124:125], v[126:127]
	ds_write_b128 v195, v[169:172]
	ds_read_b128 v[124:127], v194 offset:256
	ds_read_b128 v[169:172], v194 offset:512
	s_waitcnt vmcnt(9) lgkmcnt(1)
	v_mul_f64 v[173:174], v[126:127], v[130:131]
	v_mul_f64 v[130:131], v[124:125], v[130:131]
	s_waitcnt vmcnt(8) lgkmcnt(0)
	v_mul_f64 v[175:176], v[171:172], v[134:135]
	v_mul_f64 v[134:135], v[169:170], v[134:135]
	v_fma_f64 v[124:125], v[124:125], v[128:129], -v[173:174]
	v_fma_f64 v[126:127], v[126:127], v[128:129], v[130:131]
	ds_read_b128 v[128:131], v194 offset:768
	v_fma_f64 v[169:170], v[169:170], v[132:133], -v[175:176]
	v_fma_f64 v[171:172], v[171:172], v[132:133], v[134:135]
	ds_read_b128 v[132:135], v194 offset:1024
	s_waitcnt vmcnt(7) lgkmcnt(1)
	v_mul_f64 v[173:174], v[130:131], v[138:139]
	v_mul_f64 v[138:139], v[128:129], v[138:139]
	s_waitcnt vmcnt(6) lgkmcnt(0)
	v_mul_f64 v[175:176], v[134:135], v[142:143]
	v_mul_f64 v[142:143], v[132:133], v[142:143]
	v_fma_f64 v[128:129], v[128:129], v[136:137], -v[173:174]
	v_fma_f64 v[130:131], v[130:131], v[136:137], v[138:139]
	ds_read_b128 v[136:139], v194 offset:1280
	v_fma_f64 v[132:133], v[132:133], v[140:141], -v[175:176]
	v_fma_f64 v[134:135], v[134:135], v[140:141], v[142:143]
	;; [unrolled: 12-line block ×4, first 2 shown]
	ds_read_b128 v[156:159], v194 offset:2560
	s_waitcnt vmcnt(1) lgkmcnt(1)
	v_mul_f64 v[173:174], v[154:155], v[162:163]
	v_mul_f64 v[162:163], v[152:153], v[162:163]
	s_waitcnt vmcnt(0) lgkmcnt(0)
	v_mul_f64 v[175:176], v[158:159], v[166:167]
	v_fma_f64 v[152:153], v[152:153], v[160:161], -v[173:174]
	v_fma_f64 v[154:155], v[154:155], v[160:161], v[162:163]
	v_mul_f64 v[160:161], v[156:157], v[166:167]
	v_fma_f64 v[156:157], v[156:157], v[164:165], -v[175:176]
	v_fma_f64 v[158:159], v[158:159], v[164:165], v[160:161]
	ds_write_b128 v194, v[124:127] offset:256
	ds_write_b128 v194, v[169:172] offset:512
	ds_write_b128 v194, v[128:131] offset:768
	ds_write_b128 v194, v[132:135] offset:1024
	ds_write_b128 v194, v[136:139] offset:1280
	ds_write_b128 v194, v[140:143] offset:1536
	ds_write_b128 v194, v[144:147] offset:1792
	ds_write_b128 v194, v[148:151] offset:2048
	ds_write_b128 v194, v[152:155] offset:2304
	ds_write_b128 v194, v[156:159] offset:2560
	s_waitcnt lgkmcnt(0)
	s_barrier
	buffer_gl0_inv
	ds_read_b128 v[128:131], v194 offset:256
	ds_read_b128 v[132:135], v195
	ds_read_b128 v[136:139], v194 offset:512
	ds_read_b128 v[140:143], v194 offset:768
	s_waitcnt lgkmcnt(2)
	v_add_f64 v[124:125], v[132:133], v[128:129]
	v_add_f64 v[126:127], v[134:135], v[130:131]
	s_waitcnt lgkmcnt(1)
	v_add_f64 v[124:125], v[124:125], v[136:137]
	v_add_f64 v[126:127], v[126:127], v[138:139]
	;; [unrolled: 3-line block ×3, first 2 shown]
	ds_read_b128 v[144:147], v194 offset:1024
	ds_read_b128 v[124:127], v194 offset:2560
	;; [unrolled: 1-line block ×4, first 2 shown]
	s_waitcnt lgkmcnt(2)
	v_add_f64 v[169:170], v[130:131], -v[126:127]
	v_add_f64 v[160:161], v[152:153], v[144:145]
	v_add_f64 v[162:163], v[154:155], v[146:147]
	ds_read_b128 v[152:155], v194 offset:1536
	v_add_f64 v[130:131], v[130:131], v[126:127]
	v_add_f64 v[171:172], v[128:129], v[124:125]
	v_add_f64 v[128:129], v[128:129], -v[124:125]
	s_waitcnt lgkmcnt(1)
	v_add_f64 v[227:228], v[146:147], v[158:159]
	v_add_f64 v[229:230], v[146:147], -v[158:159]
	v_mul_f64 v[173:174], v[169:170], s[4:5]
	s_waitcnt lgkmcnt(0)
	v_add_f64 v[164:165], v[148:149], v[152:153]
	v_add_f64 v[160:161], v[160:161], v[148:149]
	;; [unrolled: 1-line block ×4, first 2 shown]
	v_mul_f64 v[175:176], v[169:170], s[14:15]
	v_add_f64 v[166:167], v[148:149], -v[152:153]
	v_mul_f64 v[148:149], v[169:170], s[12:13]
	v_add_f64 v[199:200], v[150:151], -v[154:155]
	v_mul_f64 v[150:151], v[169:170], s[6:7]
	v_mul_f64 v[169:170], v[169:170], s[0:1]
	v_mul_f64 v[185:186], v[130:131], s[20:21]
	v_mul_f64 v[187:188], v[130:131], s[28:29]
	v_mul_f64 v[235:236], v[229:230], s[30:31]
	v_mul_f64 v[237:238], v[227:228], s[20:21]
	v_add_f64 v[152:153], v[160:161], v[152:153]
	v_add_f64 v[154:155], v[162:163], v[154:155]
	v_fma_f64 v[160:161], v[171:172], s[16:17], v[173:174]
	v_fma_f64 v[162:163], v[171:172], s[16:17], -v[173:174]
	v_fma_f64 v[173:174], v[171:172], s[18:19], v[175:176]
	v_fma_f64 v[175:176], v[171:172], s[18:19], -v[175:176]
	;; [unrolled: 2-line block ×5, first 2 shown]
	v_mul_f64 v[169:170], v[130:131], s[16:17]
	v_mul_f64 v[171:172], v[130:131], s[18:19]
	;; [unrolled: 1-line block ×3, first 2 shown]
	v_fma_f64 v[201:202], v[128:129], s[30:31], v[185:186]
	v_fma_f64 v[185:186], v[128:129], s[12:13], v[185:186]
	;; [unrolled: 1-line block ×4, first 2 shown]
	v_mul_f64 v[239:240], v[199:200], s[24:25]
	v_mul_f64 v[241:242], v[197:198], s[16:17]
	;; [unrolled: 1-line block ×3, first 2 shown]
	v_add_f64 v[160:161], v[132:133], v[160:161]
	v_add_f64 v[162:163], v[132:133], v[162:163]
	v_add_f64 v[211:212], v[132:133], v[173:174]
	v_add_f64 v[215:216], v[132:133], v[177:178]
	v_add_f64 v[148:149], v[132:133], v[148:149]
	v_add_f64 v[219:220], v[132:133], v[179:180]
	v_add_f64 v[173:174], v[132:133], v[150:151]
	v_add_f64 v[221:222], v[132:133], v[181:182]
	v_add_f64 v[223:224], v[132:133], v[183:184]
	v_fma_f64 v[189:190], v[128:129], s[24:25], v[169:170]
	v_fma_f64 v[169:170], v[128:129], s[4:5], v[169:170]
	;; [unrolled: 1-line block ×6, first 2 shown]
	v_add_f64 v[201:202], v[134:135], v[201:202]
	v_add_f64 v[217:218], v[134:135], v[185:186]
	;; [unrolled: 1-line block ×4, first 2 shown]
	v_add_f64 v[179:180], v[144:145], -v[156:157]
	v_add_f64 v[207:208], v[134:135], v[189:190]
	v_add_f64 v[209:210], v[134:135], v[169:170]
	;; [unrolled: 1-line block ×10, first 2 shown]
	ds_read_b128 v[128:131], v194 offset:2048
	ds_read_b128 v[156:159], v194 offset:2304
	s_waitcnt lgkmcnt(0)
	s_barrier
	buffer_gl0_inv
	v_add_f64 v[154:155], v[142:143], -v[130:131]
	v_add_f64 v[231:232], v[138:139], -v[158:159]
	v_add_f64 v[185:186], v[132:133], v[128:129]
	v_add_f64 v[189:190], v[136:137], v[156:157]
	;; [unrolled: 1-line block ×3, first 2 shown]
	v_add_f64 v[183:184], v[140:141], -v[128:129]
	v_add_f64 v[233:234], v[138:139], v[158:159]
	v_add_f64 v[191:192], v[136:137], -v[156:157]
	v_add_f64 v[152:153], v[142:143], v[130:131]
	v_add_f64 v[187:188], v[134:135], v[130:131]
	v_mul_f64 v[136:137], v[154:155], s[12:13]
	v_mul_f64 v[132:133], v[231:232], s[14:15]
	v_add_f64 v[185:186], v[185:186], v[156:157]
	v_mul_f64 v[134:135], v[233:234], s[18:19]
	v_add_f64 v[187:188], v[187:188], v[158:159]
	v_fma_f64 v[138:139], v[181:182], s[20:21], v[136:137]
	v_fma_f64 v[128:129], v[189:190], s[18:19], v[132:133]
	v_fma_f64 v[132:133], v[189:190], s[18:19], -v[132:133]
	v_fma_f64 v[136:137], v[181:182], s[20:21], -v[136:137]
	v_add_f64 v[124:125], v[185:186], v[124:125]
	v_fma_f64 v[130:131], v[191:192], s[26:27], v[134:135]
	v_fma_f64 v[134:135], v[191:192], s[14:15], v[134:135]
	v_add_f64 v[126:127], v[187:188], v[126:127]
	v_add_f64 v[128:129], v[128:129], v[160:161]
	;; [unrolled: 1-line block ×5, first 2 shown]
	v_mul_f64 v[207:208], v[231:232], s[6:7]
	v_mul_f64 v[209:210], v[233:234], s[28:29]
	v_add_f64 v[128:129], v[138:139], v[128:129]
	v_mul_f64 v[138:139], v[152:153], s[20:21]
	v_add_f64 v[132:133], v[136:137], v[132:133]
	v_fma_f64 v[158:159], v[189:190], s[28:29], -v[207:208]
	v_fma_f64 v[140:141], v[183:184], s[30:31], v[138:139]
	v_fma_f64 v[136:137], v[183:184], s[12:13], v[138:139]
	v_add_f64 v[158:159], v[158:159], v[169:170]
	v_add_f64 v[130:131], v[140:141], v[130:131]
	v_mul_f64 v[140:141], v[229:230], s[6:7]
	v_add_f64 v[134:135], v[136:137], v[134:135]
	v_fma_f64 v[142:143], v[177:178], s[28:29], v[140:141]
	v_fma_f64 v[136:137], v[177:178], s[28:29], -v[140:141]
	v_add_f64 v[128:129], v[142:143], v[128:129]
	v_mul_f64 v[142:143], v[227:228], s[28:29]
	v_add_f64 v[132:133], v[136:137], v[132:133]
	v_fma_f64 v[144:145], v[179:180], s[36:37], v[142:143]
	v_fma_f64 v[136:137], v[179:180], s[6:7], v[142:143]
	v_add_f64 v[130:131], v[144:145], v[130:131]
	v_mul_f64 v[144:145], v[199:200], s[0:1]
	v_add_f64 v[134:135], v[136:137], v[134:135]
	v_fma_f64 v[146:147], v[164:165], s[22:23], v[144:145]
	v_fma_f64 v[136:137], v[164:165], s[22:23], -v[144:145]
	v_mul_f64 v[144:145], v[231:232], s[34:35]
	v_add_f64 v[128:129], v[146:147], v[128:129]
	v_mul_f64 v[146:147], v[197:198], s[22:23]
	v_add_f64 v[140:141], v[136:137], v[132:133]
	v_fma_f64 v[132:133], v[189:190], s[28:29], v[207:208]
	v_fma_f64 v[138:139], v[166:167], s[0:1], v[146:147]
	;; [unrolled: 1-line block ×3, first 2 shown]
	v_add_f64 v[132:133], v[132:133], v[211:212]
	v_mul_f64 v[211:212], v[154:155], s[34:35]
	v_mul_f64 v[146:147], v[233:234], s[22:23]
	v_add_f64 v[142:143], v[138:139], v[134:135]
	v_fma_f64 v[134:135], v[191:192], s[36:37], v[209:210]
	v_add_f64 v[130:131], v[150:151], v[130:131]
	v_fma_f64 v[136:137], v[181:182], s[22:23], v[211:212]
	v_mul_f64 v[150:151], v[154:155], s[26:27]
	v_fma_f64 v[138:139], v[191:192], s[0:1], v[146:147]
	v_fma_f64 v[146:147], v[191:192], s[34:35], v[146:147]
	v_add_f64 v[134:135], v[134:135], v[213:214]
	v_mul_f64 v[213:214], v[152:153], s[22:23]
	v_add_f64 v[132:133], v[136:137], v[132:133]
	v_fma_f64 v[160:161], v[181:182], s[18:19], v[150:151]
	v_add_f64 v[138:139], v[138:139], v[201:202]
	v_add_f64 v[146:147], v[146:147], v[217:218]
	v_mul_f64 v[217:218], v[152:153], s[16:17]
	v_fma_f64 v[136:137], v[183:184], s[0:1], v[213:214]
	v_add_f64 v[134:135], v[136:137], v[134:135]
	v_fma_f64 v[136:137], v[177:178], s[20:21], v[235:236]
	v_add_f64 v[132:133], v[136:137], v[132:133]
	;; [unrolled: 2-line block ×5, first 2 shown]
	v_fma_f64 v[136:137], v[189:190], s[22:23], v[144:145]
	v_fma_f64 v[144:145], v[189:190], s[22:23], -v[144:145]
	v_add_f64 v[136:137], v[136:137], v[215:216]
	v_add_f64 v[144:145], v[144:145], v[148:149]
	v_fma_f64 v[148:149], v[181:182], s[18:19], -v[150:151]
	v_add_f64 v[136:137], v[160:161], v[136:137]
	v_mul_f64 v[160:161], v[152:153], s[18:19]
	v_add_f64 v[144:145], v[148:149], v[144:145]
	v_fma_f64 v[162:163], v[183:184], s[14:15], v[160:161]
	v_fma_f64 v[148:149], v[183:184], s[26:27], v[160:161]
	v_add_f64 v[138:139], v[162:163], v[138:139]
	v_mul_f64 v[162:163], v[229:230], s[4:5]
	v_add_f64 v[146:147], v[148:149], v[146:147]
	v_fma_f64 v[201:202], v[177:178], s[16:17], v[162:163]
	v_fma_f64 v[148:149], v[177:178], s[16:17], -v[162:163]
	v_add_f64 v[136:137], v[201:202], v[136:137]
	v_mul_f64 v[201:202], v[227:228], s[16:17]
	v_add_f64 v[144:145], v[148:149], v[144:145]
	v_fma_f64 v[215:216], v[179:180], s[24:25], v[201:202]
	v_fma_f64 v[148:149], v[179:180], s[4:5], v[201:202]
	v_mul_f64 v[201:202], v[231:232], s[30:31]
	v_add_f64 v[138:139], v[215:216], v[138:139]
	v_mul_f64 v[215:216], v[199:200], s[6:7]
	v_add_f64 v[146:147], v[148:149], v[146:147]
	v_fma_f64 v[156:157], v[189:190], s[20:21], -v[201:202]
	v_fma_f64 v[243:244], v[164:165], s[28:29], v[215:216]
	v_fma_f64 v[148:149], v[164:165], s[28:29], -v[215:216]
	v_mul_f64 v[215:216], v[233:234], s[20:21]
	v_add_f64 v[156:157], v[156:157], v[173:174]
	v_add_f64 v[136:137], v[243:244], v[136:137]
	v_mul_f64 v[243:244], v[197:198], s[28:29]
	v_add_f64 v[148:149], v[148:149], v[144:145]
	v_fma_f64 v[144:145], v[189:190], s[20:21], v[201:202]
	v_mul_f64 v[197:198], v[197:198], s[20:21]
	v_fma_f64 v[150:151], v[166:167], s[6:7], v[243:244]
	v_fma_f64 v[245:246], v[166:167], s[36:37], v[243:244]
	v_add_f64 v[144:145], v[144:145], v[219:220]
	v_mul_f64 v[219:220], v[229:230], s[0:1]
	v_mul_f64 v[243:244], v[227:228], s[22:23]
	;; [unrolled: 1-line block ×3, first 2 shown]
	v_add_f64 v[150:151], v[150:151], v[146:147]
	v_fma_f64 v[146:147], v[191:192], s[12:13], v[215:216]
	v_add_f64 v[138:139], v[245:246], v[138:139]
	v_mul_f64 v[245:246], v[199:200], s[26:27]
	v_mul_f64 v[199:200], v[199:200], s[12:13]
	v_add_f64 v[146:147], v[146:147], v[203:204]
	v_mul_f64 v[203:204], v[154:155], s[4:5]
	v_fma_f64 v[160:161], v[181:182], s[16:17], v[203:204]
	v_add_f64 v[144:145], v[160:161], v[144:145]
	v_fma_f64 v[160:161], v[183:184], s[24:25], v[217:218]
	v_add_f64 v[146:147], v[160:161], v[146:147]
	;; [unrolled: 2-line block ×6, first 2 shown]
	v_mul_f64 v[160:161], v[231:232], s[24:25]
	v_fma_f64 v[162:163], v[189:190], s[16:17], v[160:161]
	v_fma_f64 v[160:161], v[189:190], s[16:17], -v[160:161]
	v_fma_f64 v[189:190], v[191:192], s[30:31], v[215:216]
	v_add_f64 v[162:163], v[162:163], v[221:222]
	v_mul_f64 v[221:222], v[233:234], s[16:17]
	v_add_f64 v[160:161], v[160:161], v[223:224]
	v_add_f64 v[173:174], v[189:190], v[175:176]
	v_fma_f64 v[175:176], v[177:178], s[20:21], -v[235:236]
	v_fma_f64 v[231:232], v[191:192], s[4:5], v[221:222]
	v_fma_f64 v[221:222], v[191:192], s[24:25], v[221:222]
	;; [unrolled: 1-line block ×3, first 2 shown]
	v_add_f64 v[205:206], v[231:232], v[205:206]
	v_mul_f64 v[231:232], v[154:155], s[6:7]
	v_add_f64 v[221:222], v[221:222], v[225:226]
	v_add_f64 v[169:170], v[191:192], v[171:172]
	v_fma_f64 v[171:172], v[177:178], s[22:23], -v[219:220]
	v_fma_f64 v[154:155], v[181:182], s[28:29], v[231:232]
	v_fma_f64 v[223:224], v[181:182], s[28:29], -v[231:232]
	v_add_f64 v[154:155], v[154:155], v[162:163]
	v_mul_f64 v[162:163], v[152:153], s[28:29]
	v_add_f64 v[160:161], v[223:224], v[160:161]
	v_fma_f64 v[152:153], v[183:184], s[36:37], v[162:163]
	v_fma_f64 v[162:163], v[183:184], s[6:7], v[162:163]
	v_add_f64 v[152:153], v[152:153], v[205:206]
	v_mul_f64 v[205:206], v[229:230], s[26:27]
	v_add_f64 v[162:163], v[162:163], v[221:222]
	v_fma_f64 v[229:230], v[177:178], s[18:19], v[205:206]
	v_fma_f64 v[205:206], v[177:178], s[18:19], -v[205:206]
	v_fma_f64 v[177:178], v[179:180], s[0:1], v[243:244]
	v_add_f64 v[154:155], v[229:230], v[154:155]
	v_fma_f64 v[229:230], v[179:180], s[14:15], v[227:228]
	v_add_f64 v[160:161], v[205:206], v[160:161]
	v_fma_f64 v[205:206], v[179:180], s[26:27], v[227:228]
	v_fma_f64 v[179:180], v[179:180], s[30:31], v[237:238]
	v_add_f64 v[229:230], v[229:230], v[152:153]
	v_fma_f64 v[152:153], v[164:165], s[20:21], v[199:200]
	v_add_f64 v[162:163], v[205:206], v[162:163]
	v_fma_f64 v[199:200], v[164:165], s[20:21], -v[199:200]
	v_add_f64 v[152:153], v[152:153], v[154:155]
	v_fma_f64 v[154:155], v[166:167], s[30:31], v[197:198]
	v_fma_f64 v[197:198], v[166:167], s[12:13], v[197:198]
	v_add_f64 v[160:161], v[199:200], v[160:161]
	v_fma_f64 v[199:200], v[183:184], s[4:5], v[217:218]
	v_fma_f64 v[183:184], v[183:184], s[34:35], v[213:214]
	v_add_f64 v[154:155], v[154:155], v[229:230]
	v_add_f64 v[162:163], v[197:198], v[162:163]
	v_fma_f64 v[197:198], v[181:182], s[16:17], -v[203:204]
	v_fma_f64 v[181:182], v[181:182], s[22:23], -v[211:212]
	v_add_f64 v[173:174], v[199:200], v[173:174]
	v_add_f64 v[169:170], v[183:184], v[169:170]
	v_fma_f64 v[183:184], v[166:167], s[26:27], v[247:248]
	v_fma_f64 v[166:167], v[166:167], s[24:25], v[241:242]
	v_add_f64 v[156:157], v[197:198], v[156:157]
	v_add_f64 v[158:159], v[181:182], v[158:159]
	v_fma_f64 v[181:182], v[164:165], s[18:19], -v[245:246]
	v_fma_f64 v[164:165], v[164:165], s[16:17], -v[239:240]
	v_add_f64 v[169:170], v[179:180], v[169:170]
	v_add_f64 v[156:157], v[171:172], v[156:157]
	;; [unrolled: 1-line block ×8, first 2 shown]
	ds_write_b128 v196, v[128:131] offset:16
	ds_write_b128 v196, v[132:135] offset:32
	;; [unrolled: 1-line block ×10, first 2 shown]
	ds_write_b128 v196, v[124:127]
	s_waitcnt lgkmcnt(0)
	s_barrier
	buffer_gl0_inv
	s_and_saveexec_b32 s0, vcc_lo
	s_cbranch_execz .LBB0_7
; %bb.6:
	ds_read_b128 v[124:127], v195
	ds_read_b128 v[128:131], v194 offset:176
	ds_read_b128 v[132:135], v194 offset:352
	;; [unrolled: 1-line block ×15, first 2 shown]
.LBB0_7:
	s_or_b32 exec_lo, exec_lo, s0
	s_and_saveexec_b32 s6, vcc_lo
	s_cbranch_execz .LBB0_9
; %bb.8:
	s_waitcnt lgkmcnt(13)
	v_mul_f64 v[169:170], v[58:59], v[132:133]
	s_waitcnt lgkmcnt(9)
	v_mul_f64 v[173:174], v[90:91], v[162:163]
	;; [unrolled: 2-line block ×3, first 2 shown]
	v_mul_f64 v[177:178], v[62:63], v[148:149]
	v_mul_f64 v[90:91], v[90:91], v[160:161]
	;; [unrolled: 1-line block ×11, first 2 shown]
	s_waitcnt lgkmcnt(0)
	v_mul_f64 v[189:190], v[98:99], v[122:123]
	v_mul_f64 v[70:71], v[70:71], v[156:157]
	;; [unrolled: 1-line block ×8, first 2 shown]
	v_fma_f64 v[134:135], v[56:57], v[134:135], -v[169:170]
	v_fma_f64 v[160:161], v[88:89], v[160:161], v[173:174]
	v_fma_f64 v[116:117], v[100:101], v[116:117], v[175:176]
	v_fma_f64 v[169:170], v[60:61], v[150:151], -v[177:178]
	v_fma_f64 v[88:89], v[88:89], v[162:163], -v[90:91]
	v_mul_f64 v[90:91], v[46:47], v[128:129]
	v_mul_f64 v[162:163], v[74:75], v[164:165]
	;; [unrolled: 1-line block ×8, first 2 shown]
	v_fma_f64 v[142:143], v[84:85], v[142:143], -v[171:172]
	v_fma_f64 v[171:172], v[48:49], v[144:145], v[179:180]
	v_fma_f64 v[173:174], v[76:77], v[104:105], v[181:182]
	v_fma_f64 v[100:101], v[100:101], v[118:119], -v[102:103]
	v_fma_f64 v[56:57], v[56:57], v[132:133], v[58:59]
	v_fma_f64 v[58:59], v[84:85], v[140:141], v[86:87]
	v_fma_f64 v[84:85], v[52:53], v[138:139], -v[183:184]
	v_fma_f64 v[86:87], v[80:81], v[110:111], -v[185:186]
	v_fma_f64 v[102:103], v[68:69], v[156:157], v[187:188]
	v_fma_f64 v[104:105], v[96:97], v[120:121], v[189:190]
	v_fma_f64 v[68:69], v[68:69], v[158:159], -v[70:71]
	;; [unrolled: 4-line block ×5, first 2 shown]
	v_fma_f64 v[50:51], v[76:77], v[106:107], -v[78:79]
	v_fma_f64 v[60:61], v[60:61], v[148:149], v[62:63]
	v_add_f64 v[62:63], v[134:135], -v[142:143]
	v_add_f64 v[72:73], v[160:161], -v[116:117]
	;; [unrolled: 1-line block ×9, first 2 shown]
	s_mov_b32 s0, 0x667f3bcd
	v_add_f64 v[54:55], v[52:53], -v[54:55]
	s_mov_b32 s1, 0x3fe6a09e
	v_add_f64 v[86:87], v[90:91], -v[110:111]
	;; [unrolled: 2-line block ×6, first 2 shown]
	v_add_f64 v[60:61], v[124:125], -v[60:61]
	s_mov_b32 s13, 0x3fed906b
	v_add_f64 v[94:95], v[62:63], -v[72:73]
	v_fma_f64 v[112:113], v[126:127], 2.0, -v[74:75]
	v_add_f64 v[96:97], v[74:75], -v[76:77]
	v_fma_f64 v[76:77], v[171:172], 2.0, -v[76:77]
	v_add_f64 v[98:99], v[78:79], v[58:59]
	v_fma_f64 v[78:79], v[88:89], 2.0, -v[78:79]
	v_add_f64 v[100:101], v[80:81], -v[82:83]
	v_fma_f64 v[82:83], v[102:103], 2.0, -v[82:83]
	v_fma_f64 v[84:85], v[84:85], 2.0, -v[80:81]
	v_add_f64 v[106:107], v[70:71], v[54:55]
	v_fma_f64 v[52:53], v[52:53], 2.0, -v[54:55]
	v_fma_f64 v[68:69], v[68:69], 2.0, -v[70:71]
	s_mov_b32 s15, 0xbfd87de2
	v_add_f64 v[104:105], v[86:87], -v[92:93]
	v_fma_f64 v[88:89], v[118:119], 2.0, -v[92:93]
	v_fma_f64 v[64:65], v[64:65], 2.0, -v[66:67]
	s_mov_b32 s17, 0x3fd87de2
	v_add_f64 v[108:109], v[66:67], v[46:47]
	v_fma_f64 v[44:45], v[44:45], 2.0, -v[46:47]
	v_fma_f64 v[48:49], v[48:49], 2.0, -v[50:51]
	v_add_f64 v[110:111], v[60:61], v[50:51]
	v_fma_f64 v[50:51], v[56:57], 2.0, -v[58:59]
	v_fma_f64 v[56:57], v[160:161], 2.0, -v[72:73]
	;; [unrolled: 1-line block ×5, first 2 shown]
	v_fma_f64 v[70:71], v[94:95], s[0:1], v[96:97]
	v_fma_f64 v[74:75], v[74:75], 2.0, -v[96:97]
	v_fma_f64 v[62:63], v[62:63], 2.0, -v[94:95]
	;; [unrolled: 1-line block ×5, first 2 shown]
	v_add_f64 v[82:83], v[52:53], -v[82:83]
	v_add_f64 v[68:69], v[84:85], -v[68:69]
	s_mov_b32 s16, s14
	v_fma_f64 v[92:93], v[100:101], s[0:1], v[104:105]
	v_fma_f64 v[86:87], v[86:87], 2.0, -v[104:105]
	s_mov_b32 s19, 0xbfed906b
	s_mov_b32 s18, s12
	v_fma_f64 v[46:47], v[46:47], 2.0, -v[108:109]
	v_add_f64 v[88:89], v[44:45], -v[88:89]
	v_add_f64 v[48:49], v[112:113], -v[48:49]
	v_fma_f64 v[60:61], v[60:61], 2.0, -v[110:111]
	v_fma_f64 v[102:103], v[106:107], s[0:1], v[108:109]
	v_add_f64 v[56:57], v[50:51], -v[56:57]
	v_add_f64 v[64:65], v[72:73], -v[64:65]
	;; [unrolled: 1-line block ×4, first 2 shown]
	v_fma_f64 v[114:115], v[98:99], s[0:1], v[110:111]
	v_fma_f64 v[98:99], v[98:99], s[4:5], v[70:71]
	;; [unrolled: 1-line block ×3, first 2 shown]
	v_fma_f64 v[52:53], v[52:53], 2.0, -v[82:83]
	v_fma_f64 v[92:93], v[106:107], s[4:5], v[92:93]
	v_fma_f64 v[106:107], v[80:81], s[4:5], v[86:87]
	;; [unrolled: 1-line block ×3, first 2 shown]
	v_fma_f64 v[44:45], v[44:45], 2.0, -v[88:89]
	v_fma_f64 v[112:113], v[112:113], 2.0, -v[48:49]
	v_fma_f64 v[118:119], v[58:59], s[4:5], v[60:61]
	v_add_f64 v[120:121], v[48:49], -v[56:57]
	v_add_f64 v[82:83], v[64:65], -v[82:83]
	v_fma_f64 v[90:91], v[90:91], 2.0, -v[78:79]
	v_fma_f64 v[66:67], v[66:67], 2.0, -v[76:77]
	;; [unrolled: 1-line block ×5, first 2 shown]
	v_add_f64 v[68:69], v[68:69], v[88:89]
	v_add_f64 v[122:123], v[76:77], v[78:79]
	v_fma_f64 v[84:85], v[100:101], s[0:1], v[102:103]
	v_fma_f64 v[114:115], v[94:95], s[0:1], v[114:115]
	v_fma_f64 v[94:95], v[58:59], s[4:5], v[70:71]
	v_fma_f64 v[96:97], v[96:97], 2.0, -v[98:99]
	v_fma_f64 v[100:101], v[104:105], 2.0, -v[92:93]
	v_fma_f64 v[78:79], v[54:55], s[4:5], v[106:107]
	v_fma_f64 v[54:55], v[80:81], s[0:1], v[116:117]
	v_add_f64 v[52:53], v[44:45], -v[52:53]
	v_fma_f64 v[80:81], v[62:63], s[0:1], v[118:119]
	v_fma_f64 v[102:103], v[48:49], 2.0, -v[120:121]
	v_fma_f64 v[48:49], v[64:65], 2.0, -v[82:83]
	v_add_f64 v[90:91], v[112:113], -v[90:91]
	v_fma_f64 v[58:59], v[82:83], s[0:1], v[120:121]
	v_add_f64 v[104:105], v[66:67], -v[50:51]
	v_fma_f64 v[50:51], v[92:93], s[12:13], v[98:99]
	v_add_f64 v[72:73], v[56:57], -v[72:73]
	v_fma_f64 v[64:65], v[88:89], 2.0, -v[68:69]
	v_fma_f64 v[76:77], v[76:77], 2.0, -v[122:123]
	;; [unrolled: 1-line block ×5, first 2 shown]
	v_fma_f64 v[128:129], v[68:69], s[0:1], v[122:123]
	v_fma_f64 v[70:71], v[100:101], s[14:15], v[96:97]
	v_fma_f64 v[86:87], v[86:87], 2.0, -v[78:79]
	v_fma_f64 v[130:131], v[84:85], s[12:13], v[114:115]
	v_fma_f64 v[74:75], v[46:47], 2.0, -v[54:55]
	v_fma_f64 v[44:45], v[44:45], 2.0, -v[52:53]
	;; [unrolled: 1-line block ×3, first 2 shown]
	v_fma_f64 v[60:61], v[78:79], s[16:17], v[94:95]
	v_fma_f64 v[126:127], v[54:55], s[16:17], v[80:81]
	v_fma_f64 v[110:111], v[48:49], s[4:5], v[102:103]
	v_fma_f64 v[112:113], v[112:113], 2.0, -v[90:91]
	v_fma_f64 v[116:117], v[66:67], 2.0, -v[104:105]
	v_fma_f64 v[46:47], v[84:85], s[14:15], v[50:51]
	v_fma_f64 v[56:57], v[56:57], 2.0, -v[72:73]
	v_fma_f64 v[50:51], v[68:69], s[4:5], v[58:59]
	v_fma_f64 v[118:119], v[64:65], s[4:5], v[76:77]
	v_add_f64 v[58:59], v[90:91], -v[52:53]
	v_fma_f64 v[124:125], v[62:63], s[14:15], v[88:89]
	v_fma_f64 v[62:63], v[62:63], s[18:19], v[70:71]
	;; [unrolled: 1-line block ×7, first 2 shown]
	v_add_f64 v[68:69], v[116:117], -v[44:45]
	v_fma_f64 v[44:45], v[92:93], s[16:17], v[130:131]
	v_add_f64 v[70:71], v[112:113], -v[56:57]
	v_add_f64 v[56:57], v[104:105], v[72:73]
	v_fma_f64 v[64:65], v[48:49], s[0:1], v[118:119]
	v_fma_f64 v[48:49], v[82:83], s[0:1], v[128:129]
	;; [unrolled: 1-line block ×3, first 2 shown]
	v_fma_f64 v[78:79], v[98:99], 2.0, -v[46:47]
	v_fma_f64 v[90:91], v[90:91], 2.0, -v[58:59]
	;; [unrolled: 1-line block ×3, first 2 shown]
	v_fma_f64 v[74:75], v[74:75], s[14:15], v[132:133]
	v_fma_f64 v[72:73], v[86:87], s[16:17], v[134:135]
	v_fma_f64 v[86:87], v[94:95], 2.0, -v[54:55]
	v_fma_f64 v[94:95], v[96:97], 2.0, -v[62:63]
	;; [unrolled: 1-line block ×13, first 2 shown]
	ds_write_b128 v195, v[100:103]
	ds_write_b128 v194, v[96:99] offset:352
	ds_write_b128 v194, v[92:95] offset:528
	;; [unrolled: 1-line block ×15, first 2 shown]
.LBB0_9:
	s_or_b32 exec_lo, exec_lo, s6
	s_waitcnt lgkmcnt(0)
	s_barrier
	buffer_gl0_inv
	ds_read_b128 v[44:47], v195
	ds_read_b128 v[48:51], v194 offset:256
	ds_read_b128 v[52:55], v194 offset:512
	;; [unrolled: 1-line block ×5, first 2 shown]
	v_mad_u64_u32 v[88:89], null, s10, v168, 0
	v_mad_u64_u32 v[90:91], null, s8, v193, 0
	ds_read_b128 v[68:71], v194 offset:1536
	ds_read_b128 v[72:75], v194 offset:1792
	ds_read_b128 v[76:79], v194 offset:2048
	ds_read_b128 v[80:83], v194 offset:2304
	ds_read_b128 v[84:87], v194 offset:2560
	s_mov_b32 s4, 0x745d1746
	s_mov_b32 s5, 0x3f7745d1
	s_lshl_b64 s[0:1], s[8:9], 8
	v_mad_u64_u32 v[98:99], null, s11, v168, v[89:90]
	s_waitcnt lgkmcnt(10)
	v_mul_f64 v[92:93], v[26:27], v[46:47]
	v_mul_f64 v[26:27], v[26:27], v[44:45]
	s_waitcnt lgkmcnt(9)
	v_mul_f64 v[94:95], v[34:35], v[50:51]
	v_mul_f64 v[34:35], v[34:35], v[48:49]
	;; [unrolled: 3-line block ×4, first 2 shown]
	v_mov_b32_e32 v89, v98
	s_waitcnt lgkmcnt(5)
	v_mul_f64 v[106:107], v[6:7], v[66:67]
	v_mul_f64 v[6:7], v[6:7], v[64:65]
	v_fma_f64 v[22:23], v[24:25], v[44:45], v[92:93]
	v_fma_f64 v[24:25], v[24:25], v[46:47], -v[26:27]
	v_fma_f64 v[26:27], v[32:33], v[48:49], v[94:95]
	v_fma_f64 v[32:33], v[32:33], v[50:51], -v[34:35]
	v_mad_u64_u32 v[99:100], null, s9, v193, v[91:92]
	v_fma_f64 v[44:45], v[28:29], v[54:55], -v[30:31]
	v_fma_f64 v[34:35], v[28:29], v[52:53], v[96:97]
	v_mul_f64 v[100:101], v[14:15], v[58:59]
	v_mul_f64 v[14:15], v[14:15], v[56:57]
	v_lshlrev_b64 v[28:29], 4, v[88:89]
	s_waitcnt lgkmcnt(4)
	v_mul_f64 v[46:47], v[2:3], v[70:71]
	v_mov_b32_e32 v91, v99
	v_mul_f64 v[2:3], v[2:3], v[68:69]
	s_waitcnt lgkmcnt(3)
	v_mul_f64 v[48:49], v[10:11], v[74:75]
	v_mul_f64 v[50:51], v[10:11], v[72:73]
	v_add_co_u32 v88, vcc_lo, s2, v28
	v_lshlrev_b64 v[10:11], 4, v[90:91]
	v_add_co_ci_u32_e32 v89, vcc_lo, s3, v29, vcc_lo
	s_waitcnt lgkmcnt(2)
	v_mul_f64 v[52:53], v[18:19], v[78:79]
	v_mul_f64 v[22:23], v[22:23], s[4:5]
	;; [unrolled: 1-line block ×6, first 2 shown]
	v_add_co_u32 v10, vcc_lo, v88, v10
	v_mul_f64 v[32:33], v[44:45], s[4:5]
	v_fma_f64 v[44:45], v[20:21], v[60:61], v[102:103]
	v_fma_f64 v[20:21], v[20:21], v[62:63], -v[104:105]
	v_mul_f64 v[30:31], v[34:35], s[4:5]
	v_fma_f64 v[54:55], v[12:13], v[56:57], v[100:101]
	v_fma_f64 v[12:13], v[12:13], v[58:59], -v[14:15]
	s_waitcnt lgkmcnt(1)
	v_mul_f64 v[14:15], v[38:39], v[82:83]
	v_mul_f64 v[38:39], v[38:39], v[80:81]
	s_waitcnt lgkmcnt(0)
	v_mul_f64 v[58:59], v[42:43], v[86:87]
	v_mul_f64 v[42:43], v[42:43], v[84:85]
	v_add_co_ci_u32_e32 v11, vcc_lo, v89, v11, vcc_lo
	v_add_co_u32 v34, vcc_lo, v10, s0
	v_fma_f64 v[6:7], v[4:5], v[66:67], -v[6:7]
	v_add_co_ci_u32_e32 v35, vcc_lo, s1, v11, vcc_lo
	v_add_co_u32 v56, vcc_lo, v34, s0
	v_add_co_ci_u32_e32 v57, vcc_lo, s1, v35, vcc_lo
	global_store_dwordx4 v[10:11], v[22:25], off
	global_store_dwordx4 v[34:35], v[26:29], off
	;; [unrolled: 1-line block ×3, first 2 shown]
	v_fma_f64 v[22:23], v[4:5], v[64:65], v[106:107]
	v_fma_f64 v[24:25], v[0:1], v[68:69], v[46:47]
	v_fma_f64 v[26:27], v[0:1], v[70:71], -v[2:3]
	v_mul_f64 v[2:3], v[20:21], s[4:5]
	v_fma_f64 v[20:21], v[8:9], v[72:73], v[48:49]
	v_fma_f64 v[8:9], v[8:9], v[74:75], -v[50:51]
	v_fma_f64 v[28:29], v[16:17], v[76:77], v[52:53]
	v_fma_f64 v[30:31], v[16:17], v[78:79], -v[18:19]
	;; [unrolled: 2-line block ×4, first 2 shown]
	v_add_co_u32 v34, vcc_lo, v56, s0
	v_add_co_ci_u32_e32 v35, vcc_lo, s1, v57, vcc_lo
	v_mul_f64 v[10:11], v[54:55], s[4:5]
	v_mul_f64 v[12:13], v[12:13], s[4:5]
	v_add_co_u32 v42, vcc_lo, v34, s0
	v_add_co_ci_u32_e32 v43, vcc_lo, s1, v35, vcc_lo
	v_mul_f64 v[0:1], v[44:45], s[4:5]
	v_add_co_u32 v44, vcc_lo, v42, s0
	v_add_co_ci_u32_e32 v45, vcc_lo, s1, v43, vcc_lo
	v_mul_f64 v[4:5], v[22:23], s[4:5]
	v_add_co_u32 v46, vcc_lo, v44, s0
	v_mul_f64 v[6:7], v[6:7], s[4:5]
	v_mul_f64 v[14:15], v[24:25], s[4:5]
	v_mul_f64 v[16:17], v[26:27], s[4:5]
	v_add_co_ci_u32_e32 v47, vcc_lo, s1, v45, vcc_lo
	v_mul_f64 v[18:19], v[20:21], s[4:5]
	v_mul_f64 v[20:21], v[8:9], s[4:5]
	;; [unrolled: 1-line block ×8, first 2 shown]
	v_add_co_u32 v8, vcc_lo, v46, s0
	v_add_co_ci_u32_e32 v9, vcc_lo, s1, v47, vcc_lo
	global_store_dwordx4 v[34:35], v[10:13], off
	v_add_co_u32 v10, vcc_lo, v8, s0
	v_add_co_ci_u32_e32 v11, vcc_lo, s1, v9, vcc_lo
	global_store_dwordx4 v[42:43], v[0:3], off
	;; [unrolled: 3-line block ×4, first 2 shown]
	global_store_dwordx4 v[8:9], v[18:21], off
	global_store_dwordx4 v[10:11], v[22:25], off
	;; [unrolled: 1-line block ×4, first 2 shown]
.LBB0_10:
	s_endpgm
	.section	.rodata,"a",@progbits
	.p2align	6, 0x0
	.amdhsa_kernel bluestein_single_back_len176_dim1_dp_op_CI_CI
		.amdhsa_group_segment_fixed_size 11264
		.amdhsa_private_segment_fixed_size 0
		.amdhsa_kernarg_size 104
		.amdhsa_user_sgpr_count 6
		.amdhsa_user_sgpr_private_segment_buffer 1
		.amdhsa_user_sgpr_dispatch_ptr 0
		.amdhsa_user_sgpr_queue_ptr 0
		.amdhsa_user_sgpr_kernarg_segment_ptr 1
		.amdhsa_user_sgpr_dispatch_id 0
		.amdhsa_user_sgpr_flat_scratch_init 0
		.amdhsa_user_sgpr_private_segment_size 0
		.amdhsa_wavefront_size32 1
		.amdhsa_uses_dynamic_stack 0
		.amdhsa_system_sgpr_private_segment_wavefront_offset 0
		.amdhsa_system_sgpr_workgroup_id_x 1
		.amdhsa_system_sgpr_workgroup_id_y 0
		.amdhsa_system_sgpr_workgroup_id_z 0
		.amdhsa_system_sgpr_workgroup_info 0
		.amdhsa_system_vgpr_workitem_id 0
		.amdhsa_next_free_vgpr 249
		.amdhsa_next_free_sgpr 38
		.amdhsa_reserve_vcc 1
		.amdhsa_reserve_flat_scratch 0
		.amdhsa_float_round_mode_32 0
		.amdhsa_float_round_mode_16_64 0
		.amdhsa_float_denorm_mode_32 3
		.amdhsa_float_denorm_mode_16_64 3
		.amdhsa_dx10_clamp 1
		.amdhsa_ieee_mode 1
		.amdhsa_fp16_overflow 0
		.amdhsa_workgroup_processor_mode 1
		.amdhsa_memory_ordered 1
		.amdhsa_forward_progress 0
		.amdhsa_shared_vgpr_count 0
		.amdhsa_exception_fp_ieee_invalid_op 0
		.amdhsa_exception_fp_denorm_src 0
		.amdhsa_exception_fp_ieee_div_zero 0
		.amdhsa_exception_fp_ieee_overflow 0
		.amdhsa_exception_fp_ieee_underflow 0
		.amdhsa_exception_fp_ieee_inexact 0
		.amdhsa_exception_int_div_zero 0
	.end_amdhsa_kernel
	.text
.Lfunc_end0:
	.size	bluestein_single_back_len176_dim1_dp_op_CI_CI, .Lfunc_end0-bluestein_single_back_len176_dim1_dp_op_CI_CI
                                        ; -- End function
	.section	.AMDGPU.csdata,"",@progbits
; Kernel info:
; codeLenInByte = 12584
; NumSgprs: 40
; NumVgprs: 249
; ScratchSize: 0
; MemoryBound: 0
; FloatMode: 240
; IeeeMode: 1
; LDSByteSize: 11264 bytes/workgroup (compile time only)
; SGPRBlocks: 4
; VGPRBlocks: 31
; NumSGPRsForWavesPerEU: 40
; NumVGPRsForWavesPerEU: 249
; Occupancy: 4
; WaveLimiterHint : 1
; COMPUTE_PGM_RSRC2:SCRATCH_EN: 0
; COMPUTE_PGM_RSRC2:USER_SGPR: 6
; COMPUTE_PGM_RSRC2:TRAP_HANDLER: 0
; COMPUTE_PGM_RSRC2:TGID_X_EN: 1
; COMPUTE_PGM_RSRC2:TGID_Y_EN: 0
; COMPUTE_PGM_RSRC2:TGID_Z_EN: 0
; COMPUTE_PGM_RSRC2:TIDIG_COMP_CNT: 0
	.text
	.p2alignl 6, 3214868480
	.fill 48, 4, 3214868480
	.type	__hip_cuid_5162e23c9a63ff47,@object ; @__hip_cuid_5162e23c9a63ff47
	.section	.bss,"aw",@nobits
	.globl	__hip_cuid_5162e23c9a63ff47
__hip_cuid_5162e23c9a63ff47:
	.byte	0                               ; 0x0
	.size	__hip_cuid_5162e23c9a63ff47, 1

	.ident	"AMD clang version 19.0.0git (https://github.com/RadeonOpenCompute/llvm-project roc-6.4.0 25133 c7fe45cf4b819c5991fe208aaa96edf142730f1d)"
	.section	".note.GNU-stack","",@progbits
	.addrsig
	.addrsig_sym __hip_cuid_5162e23c9a63ff47
	.amdgpu_metadata
---
amdhsa.kernels:
  - .args:
      - .actual_access:  read_only
        .address_space:  global
        .offset:         0
        .size:           8
        .value_kind:     global_buffer
      - .actual_access:  read_only
        .address_space:  global
        .offset:         8
        .size:           8
        .value_kind:     global_buffer
      - .actual_access:  read_only
        .address_space:  global
        .offset:         16
        .size:           8
        .value_kind:     global_buffer
      - .actual_access:  read_only
        .address_space:  global
        .offset:         24
        .size:           8
        .value_kind:     global_buffer
      - .actual_access:  read_only
        .address_space:  global
        .offset:         32
        .size:           8
        .value_kind:     global_buffer
      - .offset:         40
        .size:           8
        .value_kind:     by_value
      - .address_space:  global
        .offset:         48
        .size:           8
        .value_kind:     global_buffer
      - .address_space:  global
        .offset:         56
        .size:           8
        .value_kind:     global_buffer
      - .address_space:  global
        .offset:         64
        .size:           8
        .value_kind:     global_buffer
      - .address_space:  global
        .offset:         72
        .size:           8
        .value_kind:     global_buffer
      - .offset:         80
        .size:           4
        .value_kind:     by_value
      - .address_space:  global
        .offset:         88
        .size:           8
        .value_kind:     global_buffer
      - .address_space:  global
        .offset:         96
        .size:           8
        .value_kind:     global_buffer
    .group_segment_fixed_size: 11264
    .kernarg_segment_align: 8
    .kernarg_segment_size: 104
    .language:       OpenCL C
    .language_version:
      - 2
      - 0
    .max_flat_workgroup_size: 64
    .name:           bluestein_single_back_len176_dim1_dp_op_CI_CI
    .private_segment_fixed_size: 0
    .sgpr_count:     40
    .sgpr_spill_count: 0
    .symbol:         bluestein_single_back_len176_dim1_dp_op_CI_CI.kd
    .uniform_work_group_size: 1
    .uses_dynamic_stack: false
    .vgpr_count:     249
    .vgpr_spill_count: 0
    .wavefront_size: 32
    .workgroup_processor_mode: 1
amdhsa.target:   amdgcn-amd-amdhsa--gfx1030
amdhsa.version:
  - 1
  - 2
...

	.end_amdgpu_metadata
